;; amdgpu-corpus repo=triton-lang/triton kind=triton arch=gfx1201 opt=O3 lang=triton
	.amdgcn_target "amdgcn-amd-amdhsa--gfx1201"
	.amdhsa_code_object_version 5
	.text
	.globl	grouped_matmul_kernel           ; -- Begin function grouped_matmul_kernel
	.p2align	8
	.type	grouped_matmul_kernel,@function
grouped_matmul_kernel:                  ; @grouped_matmul_kernel
.Lfunc_begin0:
	.file	1 "/root/src/amdgpu-assembly/repos/triton-lang__triton-aot" "grouped_gemm.py"
	.loc	1 8 0                           ; grouped_gemm.py:8:0
	.cfi_sections .debug_frame
	.cfi_startproc
; %bb.0:
	s_load_b32 s26, s[0:1], 0x28
.Ltmp0:
	.loc	1 30 19 prologue_end            ; grouped_gemm.py:30:19
	s_wait_kmcnt 0x0
	s_cmp_lt_i32 s26, 1
	s_cbranch_scc1 .LBB0_10
; %bb.1:                                ; %.lr.ph43
	.loc	1 66 28                         ; grouped_gemm.py:66:28
	s_bfe_u32 s12, ttmp8, 0x50019
	v_lshlrev_b32_e32 v4, 5, v0
	.loc	1 54 63                         ; grouped_gemm.py:54:63
	s_lshl_b32 s2, s12, 5
	v_dual_mov_b32 v29, 0 :: v_dual_and_b32 v24, 15, v0
	v_and_or_b32 v1, v0, 31, s2
	s_clause 0x1
	s_load_b256 s[4:11], s[0:1], 0x0
	s_load_b64 s[2:3], s[0:1], 0x20
	v_lshlrev_b32_e32 v2, 3, v0
	v_bfe_i32 v6, v0, 3, 1
	v_and_b32_e32 v4, 0x160, v4
	v_lshrrev_b32_e32 v3, 1, v1
	v_lshlrev_b32_e32 v5, 4, v1
	v_bfe_i32 v7, v0, 2, 1
	v_and_b32_e32 v0, 16, v0
	v_and_b32_e32 v6, 0x90, v6
	;; [unrolled: 1-line block ×4, first 2 shown]
	v_and_or_b32 v4, 0x90, v7, v4
	v_and_or_b32 v7, s12, 1, v0
	v_and_b32_e32 v27, 24, v2
	.loc	1 57 61                         ; grouped_gemm.py:57:61
	v_and_b32_e32 v2, 8, v2
	v_xor_b32_e32 v3, v3, v6
	v_xor_b32_e32 v0, v4, v0
	v_and_b32_e32 v4, 0x3f0, v5
	v_lshlrev_b32_e32 v5, 1, v24
	v_lshl_add_u32 v6, v7, 5, 0
	.loc	1 54 63                         ; grouped_gemm.py:54:63
	v_bfe_u32 v25, v1, 1, 5
	v_or_b32_e32 v26, 16, v24
	.loc	1 30 19                         ; grouped_gemm.py:30:19
	v_bfe_u32 v30, v1, 2, 4
	v_lshlrev_b32_e32 v31, 1, v2
	v_add_nc_u32_e32 v32, 0, v3
	v_add_nc_u32_e32 v33, 0, v0
	;; [unrolled: 1-line block ×4, first 2 shown]
	s_mov_b32 s13, 0
	s_mov_b32 s27, ttmp9
	s_mov_b32 s28, 0
	s_wait_alu depctr_sa_sdst(0)
	s_mov_b32 s14, s13
	s_branch .LBB0_3
.LBB0_2:                                ; %._crit_edge40
                                        ;   in Loop: Header=BB0_3 Depth=1
	.loc	1 30 19                         ; grouped_gemm.py:30:19
	s_add_co_i32 s14, s14, 1
	s_mov_b32 s28, s29
	s_cmp_lg_u32 s14, s26
	s_cbranch_scc0 .LBB0_10
.LBB0_3:                                ; =>This Loop Header: Depth=1
                                        ;     Child Loop BB0_6 Depth 2
                                        ;       Child Loop BB0_8 Depth 3
	.loc	1 32 44                         ; grouped_gemm.py:32:44
	s_mul_i32 s0, s14, 3
	s_delay_alu instid0(SALU_CYCLE_1) | instskip(NEXT) | instid1(SALU_CYCLE_1)
	.loc	1 32 40 is_stmt 0               ; grouped_gemm.py:32:40
	s_ashr_i32 s1, s0, 31
	s_lshl_b64 s[0:1], s[0:1], 2
	s_wait_kmcnt 0x0
	s_add_nc_u64 s[16:17], s[10:11], s[0:1]
	.loc	1 32 21                         ; grouped_gemm.py:32:21
	global_load_b96 v[0:2], v29, s[16:17]
	s_wait_loadcnt 0x0
	v_readfirstlane_b32 s12, v0
	.loc	1 33 21 is_stmt 1               ; grouped_gemm.py:33:21
	v_readfirstlane_b32 s15, v1
.Ltmp1:
	.file	2 "/root/.local/lib/python3.13/site-packages/triton/language" "standard.py"
	.loc	2 43 17                         ; standard.py:43:17 @[ grouped_gemm.py:35:34 ]
	s_add_co_i32 s12, s12, 31
.Ltmp2:
	.loc	2 43 17 is_stmt 0               ; standard.py:43:17 @[ grouped_gemm.py:36:34 ]
	s_add_co_i32 s15, s15, 31
.Ltmp3:
	.loc	2 43 30                         ; standard.py:43:30 @[ grouped_gemm.py:35:34 ]
	s_wait_alu depctr_sa_sdst(0)
	s_ashr_i32 s16, s12, 31
.Ltmp4:
	.loc	2 43 30                         ; standard.py:43:30 @[ grouped_gemm.py:36:34 ]
	s_ashr_i32 s17, s15, 31
.Ltmp5:
	.loc	2 43 30                         ; standard.py:43:30 @[ grouped_gemm.py:35:34 ]
	s_wait_alu depctr_sa_sdst(0)
	s_lshr_b32 s16, s16, 27
.Ltmp6:
	.loc	2 43 30                         ; standard.py:43:30 @[ grouped_gemm.py:36:34 ]
	s_lshr_b32 s17, s17, 27
.Ltmp7:
	.loc	2 43 30                         ; standard.py:43:30 @[ grouped_gemm.py:35:34 ]
	s_wait_alu depctr_sa_sdst(0)
	s_add_co_i32 s12, s12, s16
.Ltmp8:
	.loc	2 43 30                         ; standard.py:43:30 @[ grouped_gemm.py:36:34 ]
	s_add_co_i32 s15, s15, s17
.Ltmp9:
	.loc	2 43 30                         ; standard.py:43:30 @[ grouped_gemm.py:35:34 ]
	s_wait_alu depctr_sa_sdst(0)
	s_ashr_i32 s12, s12, 5
.Ltmp10:
	.loc	2 43 30                         ; standard.py:43:30 @[ grouped_gemm.py:36:34 ]
	s_ashr_i32 s30, s15, 5
.Ltmp11:
	.loc	1 37 34 is_stmt 1               ; grouped_gemm.py:37:34
	s_wait_alu depctr_sa_sdst(0)
	s_mul_i32 s29, s30, s12
	s_delay_alu instid0(SALU_CYCLE_1)
	.loc	1 39 78                         ; grouped_gemm.py:39:78
	s_add_co_i32 s29, s29, s28
	.loc	1 39 27 is_stmt 0               ; grouped_gemm.py:39:27
	s_cmp_lt_i32 s27, s28
	s_cselect_b32 s12, -1, 0
	.loc	1 39 59                         ; grouped_gemm.py:39:59
	s_cmp_ge_i32 s27, s29
	s_cselect_b32 s15, -1, 0
	.loc	1 39 48                         ; grouped_gemm.py:39:48
	s_wait_alu depctr_sa_sdst(0)
	s_or_b32 s15, s12, s15
	.loc	1 32 21 is_stmt 1               ; grouped_gemm.py:32:21
	v_readfirstlane_b32 s12, v2
	.loc	1 39 48                         ; grouped_gemm.py:39:48
	s_and_b32 vcc_lo, exec_lo, s15
	s_wait_alu depctr_sa_sdst(0)
	s_cbranch_vccnz .LBB0_2
; %bb.4:                                ; %.lr.ph39
                                        ;   in Loop: Header=BB0_3 Depth=1
.Ltmp12:
	.loc	2 43 17                         ; standard.py:43:17 @[ grouped_gemm.py:60:42 ]
	s_add_co_i32 s12, s12, 15
	s_mov_b32 s19, s13
	.loc	2 43 30 is_stmt 0               ; standard.py:43:30 @[ grouped_gemm.py:60:42 ]
	s_wait_alu depctr_sa_sdst(0)
	s_ashr_i32 s15, s12, 31
	s_delay_alu instid0(SALU_CYCLE_1)
	s_lshr_b32 s16, s15, 28
.Ltmp13:
	.loc	1 45 43 is_stmt 1               ; grouped_gemm.py:45:43
	s_mov_b32 s15, s13
.Ltmp14:
	.loc	2 43 30                         ; standard.py:43:30 @[ grouped_gemm.py:60:42 ]
	s_wait_alu depctr_sa_sdst(0)
	s_add_co_i32 s16, s12, s16
.Ltmp15:
	.loc	1 45 43                         ; grouped_gemm.py:45:43
	s_lshl_b64 s[24:25], s[14:15], 3
.Ltmp16:
	.loc	2 43 30                         ; standard.py:43:30 @[ grouped_gemm.py:60:42 ]
	s_wait_alu depctr_sa_sdst(0)
	s_ashr_i32 s15, s16, 4
	s_cmp_gt_i32 s12, 15
.Ltmp17:
	.loc	1 45 43                         ; grouped_gemm.py:45:43
	s_add_nc_u64 s[20:21], s[4:5], s[24:25]
	s_cselect_b32 s12, -1, 0
	s_abs_i32 s31, s30
	.loc	1 46 43                         ; grouped_gemm.py:46:43
	s_add_nc_u64 s[22:23], s[6:7], s[24:25]
	s_cvt_f32_u32 s16, s31
	.loc	1 47 43                         ; grouped_gemm.py:47:43
	s_add_nc_u64 s[24:25], s[8:9], s[24:25]
	.loc	1 60 31                         ; grouped_gemm.py:60:31
	s_lshl_b32 s33, s30, 5
	s_wait_alu depctr_sa_sdst(0)
	v_rcp_iflag_f32_e32 v0, s16
	.loc	1 42 34                         ; grouped_gemm.py:42:34
	s_add_nc_u64 s[16:17], s[2:3], s[0:1]
	s_delay_alu instid0(TRANS32_DEP_1) | instskip(SKIP_2) | instid1(SALU_CYCLE_3)
	v_readfirstlane_b32 s18, v0
	v_cndmask_b32_e64 v0, 0, 1, s12
	s_mul_f32 s0, s18, 0x4f7ffffe
	s_cvt_u32_f32 s12, s0
	s_sub_co_i32 s0, 0, s31
	s_wait_alu depctr_sa_sdst(0)
	s_delay_alu instid0(SALU_CYCLE_1)
	s_mul_i32 s1, s0, s12
	v_cmp_ne_u32_e64 s0, 1, v0
	s_mul_hi_u32 s18, s12, s1
	s_ashr_i32 s1, s30, 31
	s_add_co_i32 s18, s12, s18
	s_branch .LBB0_6
.LBB0_5:                                ; %._crit_edge
                                        ;   in Loop: Header=BB0_6 Depth=2
	.loc	1 54 50                         ; grouped_gemm.py:54:50
	s_wait_alu depctr_sa_sdst(0)
	v_or_b32_e32 v8, s35, v24
	v_or_b32_e32 v9, s35, v26
	.loc	1 51 44                         ; grouped_gemm.py:51:44
	s_mul_i32 s12, s12, s30
	.loc	1 80 24                         ; grouped_gemm.py:80:24
	s_addk_co_i32 s27, 0x54
	.loc	1 51 44                         ; grouped_gemm.py:51:44
	s_wait_alu depctr_sa_sdst(0)
	s_sub_co_i32 s12, s34, s12
	.loc	1 74 35                         ; grouped_gemm.py:74:35
	s_wait_loadcnt 0x1
	v_mul_lo_u32 v8, v8, v36
	v_mul_lo_u32 v12, v9, v36
	.loc	1 55 50                         ; grouped_gemm.py:55:50
	s_wait_alu depctr_sa_sdst(0)
	v_lshl_or_b32 v14, s12, 5, v28
	.loc	1 39 27                         ; grouped_gemm.py:39:27
	s_cmp_ge_i32 s27, s28
	.loc	1 77 29                         ; grouped_gemm.py:77:29
	v_perm_b32 v11, v37, v38, 0x5040100
	.loc	1 39 27                         ; grouped_gemm.py:39:27
	s_cselect_b32 s12, -1, 0
	.loc	1 39 59 is_stmt 0               ; grouped_gemm.py:39:59
	s_cmp_lt_i32 s27, s29
	.loc	1 74 54 is_stmt 1               ; grouped_gemm.py:74:54
	v_ashrrev_i32_e32 v15, 31, v14
	.loc	1 74 29 is_stmt 0               ; grouped_gemm.py:74:29
	v_ashrrev_i32_e32 v9, 31, v8
	v_ashrrev_i32_e32 v13, 31, v12
	.loc	1 39 59 is_stmt 1               ; grouped_gemm.py:39:59
	s_cselect_b32 s34, -1, 0
	.loc	1 77 29                         ; grouped_gemm.py:77:29
	v_perm_b32 v6, v6, v7, 0x5040100
	.loc	1 74 54                         ; grouped_gemm.py:74:54
	v_lshlrev_b64_e32 v[14:15], 1, v[14:15]
	.loc	1 74 29 is_stmt 0               ; grouped_gemm.py:74:29
	v_lshlrev_b64_e32 v[8:9], 1, v[8:9]
	v_lshlrev_b64_e32 v[12:13], 1, v[12:13]
	.loc	1 77 29 is_stmt 1               ; grouped_gemm.py:77:29
	v_perm_b32 v5, v4, v5, 0x5040100
	v_perm_b32 v4, v2, v3, 0x5040100
	;; [unrolled: 1-line block ×3, first 2 shown]
	.loc	1 39 48                         ; grouped_gemm.py:39:48
	s_wait_alu depctr_sa_sdst(0)
	s_and_b32 s12, s12, s34
	.loc	1 74 29                         ; grouped_gemm.py:74:29
	s_wait_loadcnt 0x0
	v_add_co_u32 v8, vcc_lo, v16, v8
	s_wait_alu depctr_va_vcc(0)
	v_add_co_ci_u32_e64 v9, null, v17, v9, vcc_lo
	v_add_co_u32 v10, vcc_lo, v16, v12
	s_wait_alu depctr_va_vcc(0)
	v_add_co_ci_u32_e64 v16, null, v17, v13, vcc_lo
	.loc	1 74 54 is_stmt 0               ; grouped_gemm.py:74:54
	v_add_co_u32 v12, vcc_lo, v8, v14
	s_wait_alu depctr_va_vcc(0)
	v_add_co_ci_u32_e64 v13, null, v9, v15, vcc_lo
	v_add_co_u32 v14, vcc_lo, v10, v14
	s_wait_alu depctr_va_vcc(0)
	v_add_co_ci_u32_e64 v15, null, v16, v15, vcc_lo
	.loc	1 77 29 is_stmt 1               ; grouped_gemm.py:77:29
	v_perm_b32 v10, v22, v23, 0x5040100
	v_perm_b32 v9, v20, v21, 0x5040100
	;; [unrolled: 1-line block ×3, first 2 shown]
	.loc	1 39 48                         ; grouped_gemm.py:39:48
	s_wait_alu depctr_sa_sdst(0)
	s_and_b32 vcc_lo, exec_lo, s12
	.loc	1 77 29                         ; grouped_gemm.py:77:29
	s_clause 0x1
	global_store_b128 v[12:13], v[8:11], off
	global_store_b128 v[14:15], v[3:6], off
	.loc	1 39 48                         ; grouped_gemm.py:39:48
	s_wait_alu depctr_sa_sdst(0)
	s_cbranch_vccz .LBB0_2
.LBB0_6:                                ;   Parent Loop BB0_3 Depth=1
                                        ; =>  This Loop Header: Depth=2
                                        ;       Child Loop BB0_8 Depth 3
	.loc	1 44 26                         ; grouped_gemm.py:44:26
	s_clause 0x1
	global_load_b32 v36, v29, s[16:17] offset:8
	global_load_b64 v[16:17], v29, s[24:25]
	.loc	1 49 42                         ; grouped_gemm.py:49:42
	s_sub_co_i32 s34, s27, s28
	v_dual_mov_b32 v6, 0 :: v_dual_mov_b32 v7, 0
	.loc	1 50 45                         ; grouped_gemm.py:50:45
	s_wait_alu depctr_sa_sdst(0)
	s_abs_i32 s12, s34
	s_ashr_i32 s35, s34, 31
	s_wait_alu depctr_sa_sdst(0)
	s_mul_u64 s[36:37], s[12:13], s[18:19]
	s_xor_b32 s35, s35, s1
	s_wait_alu depctr_sa_sdst(0)
	s_mul_i32 s36, s37, s31
	v_dual_mov_b32 v4, 0 :: v_dual_mov_b32 v5, 0
	s_wait_alu depctr_sa_sdst(0)
	s_sub_co_i32 s12, s12, s36
	s_add_co_i32 s36, s37, 1
	s_wait_alu depctr_sa_sdst(0)
	s_sub_co_i32 s38, s12, s31
	s_cmp_ge_u32 s12, s31
	v_dual_mov_b32 v2, 0 :: v_dual_mov_b32 v3, 0
	s_cselect_b32 s36, s36, s37
	s_cselect_b32 s12, s38, s12
	s_wait_alu depctr_sa_sdst(0)
	s_add_co_i32 s37, s36, 1
	s_cmp_ge_u32 s12, s31
	v_dual_mov_b32 v0, 0 :: v_dual_mov_b32 v1, 0
	s_wait_alu depctr_sa_sdst(0)
	s_cselect_b32 s12, s37, s36
	v_dual_mov_b32 v37, 0 :: v_dual_mov_b32 v38, 0
	s_wait_alu depctr_sa_sdst(0)
	s_xor_b32 s12, s12, s35
	v_dual_mov_b32 v22, 0 :: v_dual_mov_b32 v23, 0
	v_dual_mov_b32 v20, 0 :: v_dual_mov_b32 v21, 0
	;; [unrolled: 1-line block ×3, first 2 shown]
	s_wait_alu depctr_sa_sdst(0)
	s_sub_co_i32 s12, s12, s35
	.loc	1 60 31                         ; grouped_gemm.py:60:31
	s_and_b32 vcc_lo, exec_lo, s0
	.loc	1 54 35                         ; grouped_gemm.py:54:35
	s_wait_alu depctr_sa_sdst(0)
	s_lshl_b32 s35, s12, 5
	.loc	1 60 31                         ; grouped_gemm.py:60:31
	s_cbranch_vccnz .LBB0_5
; %bb.7:                                ; %.lr.ph
                                        ;   in Loop: Header=BB0_6 Depth=2
	.loc	1 43 26                         ; grouped_gemm.py:43:26
	s_clause 0x2
	global_load_b64 v[11:12], v29, s[16:17]
	global_load_b64 v[20:21], v29, s[20:21]
	;; [unrolled: 1-line block ×3, first 2 shown]
	.loc	1 54 50                         ; grouped_gemm.py:54:50
	s_wait_alu depctr_sa_sdst(0)
	v_or_b32_e32 v8, s35, v25
	.loc	1 60 31                         ; grouped_gemm.py:60:31
	v_lshl_or_b32 v1, s34, 5, v27
	s_mul_i32 s36, s33, s12
	v_mov_b32_e32 v0, 0
	s_wait_alu depctr_sa_sdst(0)
	s_delay_alu instid0(VALU_DEP_2) | instskip(SKIP_1) | instid1(VALU_DEP_1)
	v_subrev_nc_u32_e32 v18, s36, v1
	s_mov_b32 s36, s15
	v_ashrrev_i32_e32 v19, 31, v18
	s_delay_alu instid0(VALU_DEP_1)
	v_lshlrev_b64_e32 v[43:44], 1, v[18:19]
	.loc	1 57 48                         ; grouped_gemm.py:57:48
	s_wait_loadcnt 0x2
	v_mul_lo_u32 v14, v8, v11
	.loc	1 60 31                         ; grouped_gemm.py:60:31
	v_mul_lo_u32 v37, v30, v12
	.loc	1 69 41                         ; grouped_gemm.py:69:41
	v_lshlrev_b32_e32 v39, 4, v12
	v_dual_mov_b32 v1, v0 :: v_dual_mov_b32 v2, v0
	v_dual_mov_b32 v3, v0 :: v_dual_mov_b32 v4, v0
	s_delay_alu instid0(VALU_DEP_3) | instskip(SKIP_3) | instid1(VALU_DEP_4)
	v_ashrrev_i32_e32 v40, 31, v39
	.loc	1 57 29                         ; grouped_gemm.py:57:29
	v_ashrrev_i32_e32 v15, 31, v14
	.loc	1 60 31                         ; grouped_gemm.py:60:31
	v_ashrrev_i32_e32 v38, 31, v37
	v_dual_mov_b32 v5, v0 :: v_dual_mov_b32 v6, v0
	v_lshlrev_b64_e32 v[18:19], 1, v[39:40]
	s_delay_alu instid0(VALU_DEP_4) | instskip(NEXT) | instid1(VALU_DEP_4)
	.loc	1 57 29                         ; grouped_gemm.py:57:29
	v_lshlrev_b64_e32 v[41:42], 1, v[14:15]
	.loc	1 60 31                         ; grouped_gemm.py:60:31
	v_lshlrev_b64_e32 v[37:38], 1, v[37:38]
	v_dual_mov_b32 v7, v0 :: v_dual_mov_b32 v8, v0
	v_dual_mov_b32 v9, v0 :: v_dual_mov_b32 v10, v0
	.loc	1 57 29                         ; grouped_gemm.py:57:29
	s_wait_loadcnt 0x1
	s_delay_alu instid0(VALU_DEP_4)
	v_add_co_u32 v15, vcc_lo, v20, v41
	s_wait_alu depctr_va_vcc(0)
	v_add_co_ci_u32_e64 v21, null, v21, v42, vcc_lo
	.loc	1 60 31                         ; grouped_gemm.py:60:31
	v_add_co_u32 v37, vcc_lo, v37, v43
	s_wait_alu depctr_va_vcc(0)
	v_add_co_ci_u32_e64 v38, null, v38, v44, vcc_lo
	.loc	1 57 54                         ; grouped_gemm.py:57:54
	;; [unrolled: 4-line block ×3, first 2 shown]
	s_wait_loadcnt 0x0
	v_add_co_u32 v22, vcc_lo, v22, v37
	v_dual_mov_b32 v11, v0 :: v_dual_mov_b32 v12, v0
	v_dual_mov_b32 v13, v0 :: v_dual_mov_b32 v14, v0
	s_wait_alu depctr_va_vcc(0)
	v_add_co_ci_u32_e64 v23, null, v23, v38, vcc_lo
	v_mov_b32_e32 v15, v0
.LBB0_8:                                ;   Parent Loop BB0_3 Depth=1
                                        ;     Parent Loop BB0_6 Depth=2
                                        ; =>    This Inner Loop Header: Depth=3
	.loc	1 65 28                         ; grouped_gemm.py:65:28
	global_load_b128 v[37:40], v[20:21], off
	.loc	1 66 28                         ; grouped_gemm.py:66:28
	global_load_b128 v[41:44], v[22:23], off
	.loc	1 68 26                         ; grouped_gemm.py:68:26
	v_add_co_u32 v20, vcc_lo, v20, 32
	s_wait_alu depctr_va_vcc(0)
	v_add_co_ci_u32_e64 v21, null, 0, v21, vcc_lo
	.loc	1 60 31                         ; grouped_gemm.py:60:31
	v_add_co_u32 v22, vcc_lo, v22, v18
	s_wait_alu depctr_va_vcc(0)
	v_add_co_ci_u32_e64 v23, null, v23, v19, vcc_lo
	s_wait_alu depctr_sa_sdst(0)
	s_add_co_i32 s36, s36, -1
	s_wait_alu depctr_sa_sdst(0)
	s_cmp_lg_u32 s36, 0
	.loc	1 65 28                         ; grouped_gemm.py:65:28
	s_wait_loadcnt 0x0
	s_barrier_signal -1
	s_barrier_wait -1
	global_inv scope:SCOPE_SE
	ds_store_b128 v32, v[37:40]
	s_wait_loadcnt_dscnt 0x0
	s_barrier_signal -1
	s_barrier_wait -1
	global_inv scope:SCOPE_SE
	ds_load_b128 v[37:40], v33
	ds_load_b128 v[45:48], v33 offset:512
	.loc	1 66 28                         ; grouped_gemm.py:66:28
	s_wait_loadcnt_dscnt 0x0
	s_barrier_signal -1
	s_barrier_wait -1
	global_inv scope:SCOPE_SE
	ds_store_b128 v34, v[41:44]
	s_wait_loadcnt_dscnt 0x0
	s_barrier_signal -1
	s_barrier_wait -1
	global_inv scope:SCOPE_SE
	ds_load_u16 v41, v35
	ds_load_u16 v42, v35 offset:128
	ds_load_u16 v43, v35 offset:256
	;; [unrolled: 1-line block ×3, first 2 shown]
	s_wait_dscnt 0x3
	ds_load_u16_d16_hi v41, v35 offset:64
	s_wait_dscnt 0x3
	ds_load_u16_d16_hi v42, v35 offset:192
	;; [unrolled: 2-line block ×4, first 2 shown]
	.loc	1 67 41                         ; grouped_gemm.py:67:41
	s_wait_dscnt 0x0
	v_wmma_f32_16x16x16_f16 v[0:7], v[41:44], v[37:40], v[0:7]
	v_wmma_f32_16x16x16_f16 v[8:15], v[41:44], v[45:48], v[8:15]
	.loc	1 60 31                         ; grouped_gemm.py:60:31
	s_cbranch_scc1 .LBB0_8
; %bb.9:                                ; %._crit_edge.loopexit
                                        ;   in Loop: Header=BB0_6 Depth=2
	.loc	1 0 31 is_stmt 0                ; grouped_gemm.py:0:31
	s_delay_alu instid0(VALU_DEP_2) | instskip(NEXT) | instid1(VALU_DEP_3)
	.loc	1 70 31 is_stmt 1               ; grouped_gemm.py:70:31
	v_cvt_f16_f32_e32 v19, v0
	v_cvt_f16_f32_e32 v18, v1
	;; [unrolled: 1-line block ×16, first 2 shown]
	s_branch .LBB0_5
.LBB0_10:                               ; %._crit_edge44
	.loc	1 30 4                          ; grouped_gemm.py:30:4
	s_endpgm
.Ltmp18:
	.section	.rodata,"a",@progbits
	.p2align	6, 0x0
	.amdhsa_kernel grouped_matmul_kernel
		.amdhsa_group_segment_fixed_size 0
		.amdhsa_private_segment_fixed_size 0
		.amdhsa_kernarg_size 64
		.amdhsa_user_sgpr_count 2
		.amdhsa_user_sgpr_dispatch_ptr 0
		.amdhsa_user_sgpr_queue_ptr 0
		.amdhsa_user_sgpr_kernarg_segment_ptr 1
		.amdhsa_user_sgpr_dispatch_id 0
		.amdhsa_user_sgpr_private_segment_size 0
		.amdhsa_wavefront_size32 1
		.amdhsa_uses_dynamic_stack 0
		.amdhsa_enable_private_segment 0
		.amdhsa_system_sgpr_workgroup_id_x 1
		.amdhsa_system_sgpr_workgroup_id_y 1
		.amdhsa_system_sgpr_workgroup_id_z 1
		.amdhsa_system_sgpr_workgroup_info 0
		.amdhsa_system_vgpr_workitem_id 0
		.amdhsa_next_free_vgpr 49
		.amdhsa_next_free_sgpr 39
		.amdhsa_reserve_vcc 1
		.amdhsa_float_round_mode_32 0
		.amdhsa_float_round_mode_16_64 0
		.amdhsa_float_denorm_mode_32 3
		.amdhsa_float_denorm_mode_16_64 3
		.amdhsa_fp16_overflow 0
		.amdhsa_workgroup_processor_mode 1
		.amdhsa_memory_ordered 1
		.amdhsa_forward_progress 1
		.amdhsa_inst_pref_size 15
		.amdhsa_round_robin_scheduling 0
		.amdhsa_exception_fp_ieee_invalid_op 0
		.amdhsa_exception_fp_denorm_src 0
		.amdhsa_exception_fp_ieee_div_zero 0
		.amdhsa_exception_fp_ieee_overflow 0
		.amdhsa_exception_fp_ieee_underflow 0
		.amdhsa_exception_fp_ieee_inexact 0
		.amdhsa_exception_int_div_zero 0
	.end_amdhsa_kernel
	.text
.Lfunc_end0:
	.size	grouped_matmul_kernel, .Lfunc_end0-grouped_matmul_kernel
	.cfi_endproc
                                        ; -- End function
	.set grouped_matmul_kernel.num_vgpr, 49
	.set grouped_matmul_kernel.num_agpr, 0
	.set grouped_matmul_kernel.numbered_sgpr, 39
	.set grouped_matmul_kernel.num_named_barrier, 0
	.set grouped_matmul_kernel.private_seg_size, 0
	.set grouped_matmul_kernel.uses_vcc, 1
	.set grouped_matmul_kernel.uses_flat_scratch, 0
	.set grouped_matmul_kernel.has_dyn_sized_stack, 0
	.set grouped_matmul_kernel.has_recursion, 0
	.set grouped_matmul_kernel.has_indirect_call, 0
	.section	.AMDGPU.csdata,"",@progbits
; Kernel info:
; codeLenInByte = 1820
; TotalNumSgprs: 41
; NumVgprs: 49
; ScratchSize: 0
; MemoryBound: 0
; FloatMode: 240
; IeeeMode: 1
; LDSByteSize: 0 bytes/workgroup (compile time only)
; SGPRBlocks: 0
; VGPRBlocks: 6
; NumSGPRsForWavesPerEU: 41
; NumVGPRsForWavesPerEU: 49
; Occupancy: 16
; WaveLimiterHint : 1
; COMPUTE_PGM_RSRC2:SCRATCH_EN: 0
; COMPUTE_PGM_RSRC2:USER_SGPR: 2
; COMPUTE_PGM_RSRC2:TRAP_HANDLER: 0
; COMPUTE_PGM_RSRC2:TGID_X_EN: 1
; COMPUTE_PGM_RSRC2:TGID_Y_EN: 1
; COMPUTE_PGM_RSRC2:TGID_Z_EN: 1
; COMPUTE_PGM_RSRC2:TIDIG_COMP_CNT: 0
	.text
	.p2alignl 7, 3214868480
	.fill 96, 4, 3214868480
	.section	.AMDGPU.gpr_maximums,"",@progbits
	.set amdgpu.max_num_vgpr, 0
	.set amdgpu.max_num_agpr, 0
	.set amdgpu.max_num_sgpr, 0
	.set amdgpu.max_num_named_barrier, 0
	.text
	.section	.debug_abbrev,"",@progbits
	.byte	1                               ; Abbreviation Code
	.byte	17                              ; DW_TAG_compile_unit
	.byte	1                               ; DW_CHILDREN_yes
	.byte	37                              ; DW_AT_producer
	.byte	14                              ; DW_FORM_strp
	.byte	19                              ; DW_AT_language
	.byte	5                               ; DW_FORM_data2
	.byte	3                               ; DW_AT_name
	.byte	14                              ; DW_FORM_strp
	.byte	16                              ; DW_AT_stmt_list
	.byte	23                              ; DW_FORM_sec_offset
	.byte	27                              ; DW_AT_comp_dir
	.byte	14                              ; DW_FORM_strp
	.byte	17                              ; DW_AT_low_pc
	.byte	1                               ; DW_FORM_addr
	.byte	18                              ; DW_AT_high_pc
	.byte	6                               ; DW_FORM_data4
	.byte	0                               ; EOM(1)
	.byte	0                               ; EOM(2)
	.byte	2                               ; Abbreviation Code
	.byte	46                              ; DW_TAG_subprogram
	.byte	0                               ; DW_CHILDREN_no
	.byte	3                               ; DW_AT_name
	.byte	14                              ; DW_FORM_strp
	.byte	32                              ; DW_AT_inline
	.byte	11                              ; DW_FORM_data1
	.byte	0                               ; EOM(1)
	.byte	0                               ; EOM(2)
	.byte	3                               ; Abbreviation Code
	.byte	46                              ; DW_TAG_subprogram
	.byte	1                               ; DW_CHILDREN_yes
	.byte	17                              ; DW_AT_low_pc
	.byte	1                               ; DW_FORM_addr
	.byte	18                              ; DW_AT_high_pc
	.byte	6                               ; DW_FORM_data4
	.byte	49                              ; DW_AT_abstract_origin
	.byte	19                              ; DW_FORM_ref4
	.byte	0                               ; EOM(1)
	.byte	0                               ; EOM(2)
	.byte	4                               ; Abbreviation Code
	.byte	29                              ; DW_TAG_inlined_subroutine
	.byte	0                               ; DW_CHILDREN_no
	.byte	49                              ; DW_AT_abstract_origin
	.byte	19                              ; DW_FORM_ref4
	.byte	85                              ; DW_AT_ranges
	.byte	23                              ; DW_FORM_sec_offset
	.byte	88                              ; DW_AT_call_file
	.byte	11                              ; DW_FORM_data1
	.byte	89                              ; DW_AT_call_line
	.byte	11                              ; DW_FORM_data1
	.byte	87                              ; DW_AT_call_column
	.byte	11                              ; DW_FORM_data1
	.byte	0                               ; EOM(1)
	.byte	0                               ; EOM(2)
	;; [unrolled: 1-line block ×3, first 2 shown]
	.section	.debug_info,"",@progbits
.Lcu_begin0:
	.long	.Ldebug_info_end0-.Ldebug_info_start0 ; Length of Unit
.Ldebug_info_start0:
	.short	4                               ; DWARF version number
	.long	.debug_abbrev                   ; Offset Into Abbrev. Section
	.byte	8                               ; Address Size (in bytes)
	.byte	1                               ; Abbrev [1] 0xb:0x5c DW_TAG_compile_unit
	.long	.Linfo_string0                  ; DW_AT_producer
	.short	2                               ; DW_AT_language
	.long	.Linfo_string1                  ; DW_AT_name
	.long	.Lline_table_start0             ; DW_AT_stmt_list
	.long	.Linfo_string2                  ; DW_AT_comp_dir
	.quad	.Lfunc_begin0                   ; DW_AT_low_pc
	.long	.Lfunc_end0-.Lfunc_begin0       ; DW_AT_high_pc
	.byte	2                               ; Abbrev [2] 0x2a:0x6 DW_TAG_subprogram
	.long	.Linfo_string3                  ; DW_AT_name
	.byte	1                               ; DW_AT_inline
	.byte	3                               ; Abbrev [3] 0x30:0x36 DW_TAG_subprogram
	.quad	.Lfunc_begin0                   ; DW_AT_low_pc
	.long	.Lfunc_end0-.Lfunc_begin0       ; DW_AT_high_pc
	.long	42                              ; DW_AT_abstract_origin
	.byte	4                               ; Abbrev [4] 0x41:0xc DW_TAG_inlined_subroutine
	.long	42                              ; DW_AT_abstract_origin
	.long	.Ldebug_ranges0                 ; DW_AT_ranges
	.byte	1                               ; DW_AT_call_file
	.byte	35                              ; DW_AT_call_line
	.byte	34                              ; DW_AT_call_column
	.byte	4                               ; Abbrev [4] 0x4d:0xc DW_TAG_inlined_subroutine
	.long	42                              ; DW_AT_abstract_origin
	.long	.Ldebug_ranges1                 ; DW_AT_ranges
	.byte	1                               ; DW_AT_call_file
	.byte	36                              ; DW_AT_call_line
	.byte	34                              ; DW_AT_call_column
	;; [unrolled: 6-line block ×3, first 2 shown]
	.byte	0                               ; End Of Children Mark
	.byte	0                               ; End Of Children Mark
.Ldebug_info_end0:
	.section	.debug_ranges,"",@progbits
.Ldebug_ranges0:
	.quad	.Ltmp1-.Lfunc_begin0
	.quad	.Ltmp2-.Lfunc_begin0
	;; [unrolled: 1-line block ×10, first 2 shown]
	.quad	0
	.quad	0
.Ldebug_ranges1:
	.quad	.Ltmp2-.Lfunc_begin0
	.quad	.Ltmp3-.Lfunc_begin0
	;; [unrolled: 1-line block ×10, first 2 shown]
	.quad	0
	.quad	0
.Ldebug_ranges2:
	.quad	.Ltmp12-.Lfunc_begin0
	.quad	.Ltmp13-.Lfunc_begin0
	;; [unrolled: 1-line block ×6, first 2 shown]
	.quad	0
	.quad	0
	.section	.debug_str,"MS",@progbits,1
.Linfo_string0:
	.asciz	"triton"                        ; string offset=0
.Linfo_string1:
	.asciz	"grouped_gemm.py"               ; string offset=7
.Linfo_string2:
	.asciz	"/root/src/amdgpu-assembly/repos/triton-lang__triton-aot" ; string offset=23
.Linfo_string3:
	.asciz	"grouped_matmul_kernel"         ; string offset=79
	.section	".note.GNU-stack","",@progbits
	.amdgpu_metadata
---
amdhsa.kernels:
  - .args:
      - .address_space:  global
        .offset:         0
        .size:           8
        .value_kind:     global_buffer
      - .address_space:  global
        .offset:         8
        .size:           8
        .value_kind:     global_buffer
      - .address_space:  global
        .offset:         16
        .size:           8
        .value_kind:     global_buffer
      - .address_space:  global
        .offset:         24
        .size:           8
        .value_kind:     global_buffer
      - .address_space:  global
        .offset:         32
        .size:           8
        .value_kind:     global_buffer
      - .offset:         40
        .size:           4
        .value_kind:     by_value
      - .address_space:  global
        .offset:         48
        .size:           8
        .value_kind:     global_buffer
      - .address_space:  global
        .offset:         56
        .size:           8
        .value_kind:     global_buffer
    .group_segment_fixed_size: 0
    .kernarg_segment_align: 8
    .kernarg_segment_size: 64
    .max_flat_workgroup_size: 64
    .name:           grouped_matmul_kernel
    .private_segment_fixed_size: 0
    .sgpr_count:     41
    .sgpr_spill_count: 0
    .symbol:         grouped_matmul_kernel.kd
    .uniform_work_group_size: 1
    .uses_dynamic_stack: false
    .vgpr_count:     49
    .vgpr_spill_count: 0
    .wavefront_size: 32
    .workgroup_processor_mode: 1
amdhsa.target:   amdgcn-amd-amdhsa--gfx1201
amdhsa.version:
  - 1
  - 2
...

	.end_amdgpu_metadata
	.section	.debug_line,"",@progbits
.Lline_table_start0:
